;; amdgpu-corpus repo=ROCm/rocFFT kind=compiled arch=gfx1030 opt=O3
	.text
	.amdgcn_target "amdgcn-amd-amdhsa--gfx1030"
	.amdhsa_code_object_version 6
	.protected	fft_rtc_back_len1430_factors_13_11_10_wgs_143_tpt_143_dp_op_CI_CI_unitstride_sbrr_R2C_dirReg ; -- Begin function fft_rtc_back_len1430_factors_13_11_10_wgs_143_tpt_143_dp_op_CI_CI_unitstride_sbrr_R2C_dirReg
	.globl	fft_rtc_back_len1430_factors_13_11_10_wgs_143_tpt_143_dp_op_CI_CI_unitstride_sbrr_R2C_dirReg
	.p2align	8
	.type	fft_rtc_back_len1430_factors_13_11_10_wgs_143_tpt_143_dp_op_CI_CI_unitstride_sbrr_R2C_dirReg,@function
fft_rtc_back_len1430_factors_13_11_10_wgs_143_tpt_143_dp_op_CI_CI_unitstride_sbrr_R2C_dirReg: ; @fft_rtc_back_len1430_factors_13_11_10_wgs_143_tpt_143_dp_op_CI_CI_unitstride_sbrr_R2C_dirReg
; %bb.0:
	s_clause 0x2
	s_load_dwordx4 s[12:15], s[4:5], 0x0
	s_load_dwordx4 s[8:11], s[4:5], 0x58
	;; [unrolled: 1-line block ×3, first 2 shown]
	v_mul_u32_u24_e32 v1, 0x1cb, v0
	v_mov_b32_e32 v3, 0
	v_add_nc_u32_sdwa v5, s6, v1 dst_sel:DWORD dst_unused:UNUSED_PAD src0_sel:DWORD src1_sel:WORD_1
	v_mov_b32_e32 v1, 0
	v_mov_b32_e32 v6, v3
	v_mov_b32_e32 v2, 0
	s_waitcnt lgkmcnt(0)
	v_cmp_lt_u64_e64 s0, s[14:15], 2
	s_and_b32 vcc_lo, exec_lo, s0
	s_cbranch_vccnz .LBB0_8
; %bb.1:
	s_load_dwordx2 s[0:1], s[4:5], 0x10
	v_mov_b32_e32 v1, 0
	v_mov_b32_e32 v2, 0
	s_add_u32 s2, s18, 8
	s_addc_u32 s3, s19, 0
	s_add_u32 s6, s16, 8
	s_addc_u32 s7, s17, 0
	v_mov_b32_e32 v53, v2
	v_mov_b32_e32 v52, v1
	s_mov_b64 s[22:23], 1
	s_waitcnt lgkmcnt(0)
	s_add_u32 s20, s0, 8
	s_addc_u32 s21, s1, 0
.LBB0_2:                                ; =>This Inner Loop Header: Depth=1
	s_load_dwordx2 s[24:25], s[20:21], 0x0
                                        ; implicit-def: $vgpr56_vgpr57
	s_mov_b32 s0, exec_lo
	s_waitcnt lgkmcnt(0)
	v_or_b32_e32 v4, s25, v6
	v_cmpx_ne_u64_e32 0, v[3:4]
	s_xor_b32 s1, exec_lo, s0
	s_cbranch_execz .LBB0_4
; %bb.3:                                ;   in Loop: Header=BB0_2 Depth=1
	v_cvt_f32_u32_e32 v4, s24
	v_cvt_f32_u32_e32 v7, s25
	s_sub_u32 s0, 0, s24
	s_subb_u32 s26, 0, s25
	v_fmac_f32_e32 v4, 0x4f800000, v7
	v_rcp_f32_e32 v4, v4
	v_mul_f32_e32 v4, 0x5f7ffffc, v4
	v_mul_f32_e32 v7, 0x2f800000, v4
	v_trunc_f32_e32 v7, v7
	v_fmac_f32_e32 v4, 0xcf800000, v7
	v_cvt_u32_f32_e32 v7, v7
	v_cvt_u32_f32_e32 v4, v4
	v_mul_lo_u32 v8, s0, v7
	v_mul_hi_u32 v9, s0, v4
	v_mul_lo_u32 v10, s26, v4
	v_add_nc_u32_e32 v8, v9, v8
	v_mul_lo_u32 v9, s0, v4
	v_add_nc_u32_e32 v8, v8, v10
	v_mul_hi_u32 v10, v4, v9
	v_mul_lo_u32 v11, v4, v8
	v_mul_hi_u32 v12, v4, v8
	v_mul_hi_u32 v13, v7, v9
	v_mul_lo_u32 v9, v7, v9
	v_mul_hi_u32 v14, v7, v8
	v_mul_lo_u32 v8, v7, v8
	v_add_co_u32 v10, vcc_lo, v10, v11
	v_add_co_ci_u32_e32 v11, vcc_lo, 0, v12, vcc_lo
	v_add_co_u32 v9, vcc_lo, v10, v9
	v_add_co_ci_u32_e32 v9, vcc_lo, v11, v13, vcc_lo
	v_add_co_ci_u32_e32 v10, vcc_lo, 0, v14, vcc_lo
	v_add_co_u32 v8, vcc_lo, v9, v8
	v_add_co_ci_u32_e32 v9, vcc_lo, 0, v10, vcc_lo
	v_add_co_u32 v4, vcc_lo, v4, v8
	v_add_co_ci_u32_e32 v7, vcc_lo, v7, v9, vcc_lo
	v_mul_hi_u32 v8, s0, v4
	v_mul_lo_u32 v10, s26, v4
	v_mul_lo_u32 v9, s0, v7
	v_add_nc_u32_e32 v8, v8, v9
	v_mul_lo_u32 v9, s0, v4
	v_add_nc_u32_e32 v8, v8, v10
	v_mul_hi_u32 v10, v4, v9
	v_mul_lo_u32 v11, v4, v8
	v_mul_hi_u32 v12, v4, v8
	v_mul_hi_u32 v13, v7, v9
	v_mul_lo_u32 v9, v7, v9
	v_mul_hi_u32 v14, v7, v8
	v_mul_lo_u32 v8, v7, v8
	v_add_co_u32 v10, vcc_lo, v10, v11
	v_add_co_ci_u32_e32 v11, vcc_lo, 0, v12, vcc_lo
	v_add_co_u32 v9, vcc_lo, v10, v9
	v_add_co_ci_u32_e32 v9, vcc_lo, v11, v13, vcc_lo
	v_add_co_ci_u32_e32 v10, vcc_lo, 0, v14, vcc_lo
	v_add_co_u32 v8, vcc_lo, v9, v8
	v_add_co_ci_u32_e32 v9, vcc_lo, 0, v10, vcc_lo
	v_add_co_u32 v4, vcc_lo, v4, v8
	v_add_co_ci_u32_e32 v11, vcc_lo, v7, v9, vcc_lo
	v_mul_hi_u32 v13, v5, v4
	v_mad_u64_u32 v[9:10], null, v6, v4, 0
	v_mad_u64_u32 v[7:8], null, v5, v11, 0
	;; [unrolled: 1-line block ×3, first 2 shown]
	v_add_co_u32 v4, vcc_lo, v13, v7
	v_add_co_ci_u32_e32 v7, vcc_lo, 0, v8, vcc_lo
	v_add_co_u32 v4, vcc_lo, v4, v9
	v_add_co_ci_u32_e32 v4, vcc_lo, v7, v10, vcc_lo
	v_add_co_ci_u32_e32 v7, vcc_lo, 0, v12, vcc_lo
	v_add_co_u32 v4, vcc_lo, v4, v11
	v_add_co_ci_u32_e32 v9, vcc_lo, 0, v7, vcc_lo
	v_mul_lo_u32 v10, s25, v4
	v_mad_u64_u32 v[7:8], null, s24, v4, 0
	v_mul_lo_u32 v11, s24, v9
	v_sub_co_u32 v7, vcc_lo, v5, v7
	v_add3_u32 v8, v8, v11, v10
	v_sub_nc_u32_e32 v10, v6, v8
	v_subrev_co_ci_u32_e64 v10, s0, s25, v10, vcc_lo
	v_add_co_u32 v11, s0, v4, 2
	v_add_co_ci_u32_e64 v12, s0, 0, v9, s0
	v_sub_co_u32 v13, s0, v7, s24
	v_sub_co_ci_u32_e32 v8, vcc_lo, v6, v8, vcc_lo
	v_subrev_co_ci_u32_e64 v10, s0, 0, v10, s0
	v_cmp_le_u32_e32 vcc_lo, s24, v13
	v_cmp_eq_u32_e64 s0, s25, v8
	v_cndmask_b32_e64 v13, 0, -1, vcc_lo
	v_cmp_le_u32_e32 vcc_lo, s25, v10
	v_cndmask_b32_e64 v14, 0, -1, vcc_lo
	v_cmp_le_u32_e32 vcc_lo, s24, v7
	;; [unrolled: 2-line block ×3, first 2 shown]
	v_cndmask_b32_e64 v15, 0, -1, vcc_lo
	v_cmp_eq_u32_e32 vcc_lo, s25, v10
	v_cndmask_b32_e64 v7, v15, v7, s0
	v_cndmask_b32_e32 v10, v14, v13, vcc_lo
	v_add_co_u32 v13, vcc_lo, v4, 1
	v_add_co_ci_u32_e32 v14, vcc_lo, 0, v9, vcc_lo
	v_cmp_ne_u32_e32 vcc_lo, 0, v10
	v_cndmask_b32_e32 v8, v14, v12, vcc_lo
	v_cndmask_b32_e32 v10, v13, v11, vcc_lo
	v_cmp_ne_u32_e32 vcc_lo, 0, v7
	v_cndmask_b32_e32 v57, v9, v8, vcc_lo
	v_cndmask_b32_e32 v56, v4, v10, vcc_lo
.LBB0_4:                                ;   in Loop: Header=BB0_2 Depth=1
	s_andn2_saveexec_b32 s0, s1
	s_cbranch_execz .LBB0_6
; %bb.5:                                ;   in Loop: Header=BB0_2 Depth=1
	v_cvt_f32_u32_e32 v4, s24
	s_sub_i32 s1, 0, s24
	v_mov_b32_e32 v57, v3
	v_rcp_iflag_f32_e32 v4, v4
	v_mul_f32_e32 v4, 0x4f7ffffe, v4
	v_cvt_u32_f32_e32 v4, v4
	v_mul_lo_u32 v7, s1, v4
	v_mul_hi_u32 v7, v4, v7
	v_add_nc_u32_e32 v4, v4, v7
	v_mul_hi_u32 v4, v5, v4
	v_mul_lo_u32 v7, v4, s24
	v_add_nc_u32_e32 v8, 1, v4
	v_sub_nc_u32_e32 v7, v5, v7
	v_subrev_nc_u32_e32 v9, s24, v7
	v_cmp_le_u32_e32 vcc_lo, s24, v7
	v_cndmask_b32_e32 v7, v7, v9, vcc_lo
	v_cndmask_b32_e32 v4, v4, v8, vcc_lo
	v_cmp_le_u32_e32 vcc_lo, s24, v7
	v_add_nc_u32_e32 v8, 1, v4
	v_cndmask_b32_e32 v56, v4, v8, vcc_lo
.LBB0_6:                                ;   in Loop: Header=BB0_2 Depth=1
	s_or_b32 exec_lo, exec_lo, s0
	v_mul_lo_u32 v4, v57, s24
	v_mul_lo_u32 v9, v56, s25
	s_load_dwordx2 s[0:1], s[6:7], 0x0
	v_mad_u64_u32 v[7:8], null, v56, s24, 0
	s_load_dwordx2 s[24:25], s[2:3], 0x0
	s_add_u32 s22, s22, 1
	s_addc_u32 s23, s23, 0
	s_add_u32 s2, s2, 8
	s_addc_u32 s3, s3, 0
	s_add_u32 s6, s6, 8
	v_add3_u32 v4, v8, v9, v4
	v_sub_co_u32 v5, vcc_lo, v5, v7
	s_addc_u32 s7, s7, 0
	s_add_u32 s20, s20, 8
	v_sub_co_ci_u32_e32 v4, vcc_lo, v6, v4, vcc_lo
	s_addc_u32 s21, s21, 0
	s_waitcnt lgkmcnt(0)
	v_mul_lo_u32 v6, s0, v4
	v_mul_lo_u32 v7, s1, v5
	v_mad_u64_u32 v[1:2], null, s0, v5, v[1:2]
	v_mul_lo_u32 v4, s24, v4
	v_mul_lo_u32 v8, s25, v5
	v_mad_u64_u32 v[52:53], null, s24, v5, v[52:53]
	v_cmp_ge_u64_e64 s0, s[22:23], s[14:15]
	v_add3_u32 v2, v7, v2, v6
	v_add3_u32 v53, v8, v53, v4
	s_and_b32 vcc_lo, exec_lo, s0
	s_cbranch_vccnz .LBB0_9
; %bb.7:                                ;   in Loop: Header=BB0_2 Depth=1
	v_mov_b32_e32 v5, v56
	v_mov_b32_e32 v6, v57
	s_branch .LBB0_2
.LBB0_8:
	v_mov_b32_e32 v53, v2
	v_mov_b32_e32 v57, v6
	;; [unrolled: 1-line block ×4, first 2 shown]
.LBB0_9:
	s_load_dwordx2 s[0:1], s[4:5], 0x28
	v_mul_hi_u32 v3, 0x1ca4b31, v0
	s_lshl_b64 s[4:5], s[14:15], 3
                                        ; implicit-def: $vgpr54
	s_add_u32 s2, s18, s4
	s_addc_u32 s3, s19, s5
	s_waitcnt lgkmcnt(0)
	v_cmp_gt_u64_e32 vcc_lo, s[0:1], v[56:57]
	v_cmp_le_u64_e64 s0, s[0:1], v[56:57]
	s_and_saveexec_b32 s1, s0
	s_xor_b32 s0, exec_lo, s1
; %bb.10:
	v_mul_u32_u24_e32 v1, 0x8f, v3
                                        ; implicit-def: $vgpr3
	v_sub_nc_u32_e32 v54, v0, v1
                                        ; implicit-def: $vgpr0
                                        ; implicit-def: $vgpr1_vgpr2
; %bb.11:
	s_andn2_saveexec_b32 s1, s0
	s_cbranch_execz .LBB0_13
; %bb.12:
	s_add_u32 s4, s16, s4
	s_addc_u32 s5, s17, s5
	v_lshlrev_b64 v[1:2], 4, v[1:2]
	s_load_dwordx2 s[4:5], s[4:5], 0x0
	s_waitcnt lgkmcnt(0)
	v_mul_lo_u32 v6, s5, v56
	v_mul_lo_u32 v7, s4, v57
	v_mad_u64_u32 v[4:5], null, s4, v56, 0
	v_add3_u32 v5, v5, v7, v6
	v_mul_u32_u24_e32 v6, 0x8f, v3
	v_lshlrev_b64 v[3:4], 4, v[4:5]
	v_sub_nc_u32_e32 v54, v0, v6
	v_lshlrev_b32_e32 v40, 4, v54
	v_add_co_u32 v0, s0, s8, v3
	v_add_co_ci_u32_e64 v3, s0, s9, v4, s0
	v_add_co_u32 v0, s0, v0, v1
	v_add_co_ci_u32_e64 v1, s0, v3, v2, s0
	;; [unrolled: 2-line block ×3, first 2 shown]
	v_add_nc_u32_e32 v40, 0, v40
	v_add_co_u32 v4, s0, 0x800, v0
	v_add_co_ci_u32_e64 v5, s0, 0, v1, s0
	v_add_co_u32 v8, s0, 0x1000, v0
	v_add_co_ci_u32_e64 v9, s0, 0, v1, s0
	;; [unrolled: 2-line block ×9, first 2 shown]
	s_clause 0x9
	global_load_dwordx4 v[0:3], v[0:1], off
	global_load_dwordx4 v[4:7], v[4:5], off offset:240
	global_load_dwordx4 v[8:11], v[8:9], off offset:480
	;; [unrolled: 1-line block ×9, first 2 shown]
	s_waitcnt vmcnt(9)
	ds_write_b128 v40, v[0:3]
	s_waitcnt vmcnt(8)
	ds_write_b128 v40, v[4:7] offset:2288
	s_waitcnt vmcnt(7)
	ds_write_b128 v40, v[8:11] offset:4576
	;; [unrolled: 2-line block ×9, first 2 shown]
.LBB0_13:
	s_or_b32 exec_lo, exec_lo, s1
	v_lshl_add_u32 v126, v54, 4, 0
	s_waitcnt lgkmcnt(0)
	s_barrier
	buffer_gl0_inv
	s_mov_b32 s24, 0x4267c47c
	ds_read_b128 v[8:11], v126
	ds_read_b128 v[0:3], v126 offset:1760
	ds_read_b128 v[12:15], v126 offset:3520
	ds_read_b128 v[20:23], v126 offset:7040
	ds_read_b128 v[24:27], v126 offset:14080
	ds_read_b128 v[28:31], v126 offset:15840
	ds_read_b128 v[4:7], v126 offset:21120
	ds_read_b128 v[32:35], v126 offset:17600
	ds_read_b128 v[36:39], v126 offset:19360
	ds_read_b128 v[40:43], v126 offset:5280
	ds_read_b128 v[44:47], v126 offset:8800
	s_mov_b32 s20, 0x42a4c3d2
	s_mov_b32 s0, 0x66966769
	;; [unrolled: 1-line block ×7, first 2 shown]
	ds_read_b128 v[48:51], v126 offset:10560
	ds_read_b128 v[127:130], v126 offset:12320
	s_mov_b32 s4, 0xe00740e9
	s_mov_b32 s18, 0x1ea71119
	;; [unrolled: 1-line block ×7, first 2 shown]
	s_waitcnt lgkmcnt(11)
	v_add_f64 v[16:17], v[8:9], v[0:1]
	v_add_f64 v[18:19], v[10:11], v[2:3]
	s_waitcnt lgkmcnt(6)
	v_add_f64 v[135:136], v[2:3], -v[6:7]
	v_add_f64 v[139:140], v[0:1], -v[4:5]
	v_add_f64 v[122:123], v[0:1], v[4:5]
	v_add_f64 v[124:125], v[2:3], v[6:7]
	;; [unrolled: 1-line block ×3, first 2 shown]
	v_add_f64 v[131:132], v[20:21], -v[28:29]
	s_waitcnt lgkmcnt(4)
	v_add_f64 v[137:138], v[14:15], -v[38:39]
	v_add_f64 v[141:142], v[12:13], -v[36:37]
	v_add_f64 v[118:119], v[12:13], v[36:37]
	v_add_f64 v[120:121], v[14:15], v[38:39]
	s_mov_b32 s23, 0xbfedeba7
	s_mov_b32 s31, 0xbfcea1e5
	s_mov_b32 s9, 0xbfef11f4
	s_mov_b32 s27, 0x3fefc445
	s_mov_b32 s26, s0
	v_add_f64 v[62:63], v[22:23], v[30:31]
	v_add_f64 v[133:134], v[22:23], -v[30:31]
	s_waitcnt lgkmcnt(3)
	v_add_f64 v[143:144], v[42:43], -v[34:35]
	v_add_f64 v[145:146], v[40:41], -v[32:33]
	v_add_f64 v[94:95], v[42:43], v[34:35]
	v_add_f64 v[16:17], v[16:17], v[12:13]
	;; [unrolled: 1-line block ×3, first 2 shown]
	v_mul_f64 v[102:103], v[135:136], s[24:25]
	v_mul_f64 v[112:113], v[139:140], s[24:25]
	;; [unrolled: 1-line block ×11, first 2 shown]
	s_mov_b32 s16, 0xb2365da1
	s_mov_b32 s28, 0x24c2f84
	;; [unrolled: 1-line block ×9, first 2 shown]
	v_add_f64 v[66:67], v[16:17], v[40:41]
	v_add_f64 v[68:69], v[18:19], v[42:43]
	v_fma_f64 v[173:174], v[122:123], s[4:5], v[102:103]
	v_fma_f64 v[175:176], v[124:125], s[4:5], -v[112:113]
	v_fma_f64 v[177:178], v[122:123], s[18:19], v[114:115]
	v_fma_f64 v[179:180], v[124:125], s[18:19], -v[116:117]
	;; [unrolled: 2-line block ×3, first 2 shown]
	s_mov_b32 s36, s22
	v_add_f64 v[92:93], v[40:41], v[32:33]
	v_mul_f64 v[86:87], v[143:144], s[0:1]
	v_mul_f64 v[88:89], v[145:146], s[0:1]
	;; [unrolled: 1-line block ×7, first 2 shown]
	v_fma_f64 v[193:194], v[118:119], s[18:19], v[98:99]
	v_fma_f64 v[195:196], v[120:121], s[18:19], -v[100:101]
	v_fma_f64 v[197:198], v[118:119], s[16:17], v[108:109]
	v_fma_f64 v[199:200], v[120:121], s[16:17], -v[110:111]
	v_fma_f64 v[201:202], v[118:119], s[8:9], v[14:15]
	v_add_f64 v[0:1], v[66:67], v[20:21]
	v_add_f64 v[2:3], v[68:69], v[22:23]
	v_mul_f64 v[20:21], v[124:125], s[6:7]
	v_mul_f64 v[22:23], v[120:121], s[8:9]
	v_add_f64 v[173:174], v[8:9], v[173:174]
	v_add_f64 v[175:176], v[10:11], v[175:176]
	v_add_f64 v[177:178], v[8:9], v[177:178]
	v_add_f64 v[179:180], v[10:11], v[179:180]
	v_add_f64 v[181:182], v[8:9], v[181:182]
	v_fma_f64 v[14:15], v[118:119], s[8:9], -v[14:15]
	v_add_f64 v[12:13], v[8:9], v[12:13]
	v_fma_f64 v[213:214], v[122:123], s[16:17], v[163:164]
	s_mov_b32 s14, 0xd0032e0c
	s_mov_b32 s15, 0xbfe7f3cc
	;; [unrolled: 1-line block ×4, first 2 shown]
	s_waitcnt lgkmcnt(2)
	v_add_f64 v[58:59], v[44:45], v[24:25]
	v_add_f64 v[64:65], v[46:47], v[26:27]
	v_add_f64 v[147:148], v[46:47], -v[26:27]
	v_add_f64 v[149:150], v[44:45], -v[24:25]
	s_waitcnt lgkmcnt(0)
	v_add_f64 v[151:152], v[50:51], -v[129:130]
	v_add_f64 v[18:19], v[50:51], v[129:130]
	v_add_f64 v[0:1], v[0:1], v[44:45]
	v_add_f64 v[2:3], v[2:3], v[46:47]
	v_fma_f64 v[183:184], v[139:140], s[26:27], v[20:21]
	v_fma_f64 v[20:21], v[139:140], s[0:1], v[20:21]
	v_fma_f64 v[203:204], v[141:142], s[38:39], v[22:23]
	v_fma_f64 v[22:23], v[141:142], s[30:31], v[22:23]
	v_mul_f64 v[74:75], v[133:134], s[22:23]
	v_mul_f64 v[80:81], v[131:132], s[22:23]
	;; [unrolled: 1-line block ×9, first 2 shown]
	v_fma_f64 v[205:206], v[94:95], s[6:7], -v[88:89]
	v_fma_f64 v[207:208], v[92:93], s[8:9], v[104:105]
	v_fma_f64 v[209:210], v[94:95], s[8:9], -v[106:107]
	v_fma_f64 v[211:212], v[92:93], s[16:17], v[40:41]
	v_fma_f64 v[217:218], v[145:146], s[22:23], v[42:43]
	v_add_f64 v[173:174], v[193:194], v[173:174]
	v_add_f64 v[175:176], v[195:196], v[175:176]
	;; [unrolled: 1-line block ×10, first 2 shown]
	v_fma_f64 v[14:15], v[145:146], s[36:37], v[42:43]
	v_fma_f64 v[195:196], v[118:119], s[14:15], v[165:166]
	v_add_f64 v[199:200], v[8:9], v[213:214]
	v_mul_f64 v[70:71], v[147:148], s[28:29]
	v_mul_f64 v[72:73], v[149:150], s[28:29]
	;; [unrolled: 1-line block ×8, first 2 shown]
	v_fma_f64 v[215:216], v[139:140], s[36:37], v[167:168]
	v_fma_f64 v[42:43], v[62:63], s[14:15], -v[96:97]
	v_fma_f64 v[193:194], v[60:61], s[4:5], v[44:45]
	v_add_f64 v[0:1], v[0:1], v[127:128]
	v_add_f64 v[2:3], v[2:3], v[129:130]
	v_mul_f64 v[129:130], v[135:136], s[30:31]
	v_fma_f64 v[135:136], v[92:93], s[6:7], v[86:87]
	v_add_f64 v[183:184], v[203:204], v[183:184]
	v_add_f64 v[20:21], v[22:23], v[20:21]
	v_fma_f64 v[22:23], v[60:61], s[16:17], v[74:75]
	v_fma_f64 v[203:204], v[131:132], s[24:25], v[46:47]
	s_mov_b32 s43, 0x3fea55e2
	s_mov_b32 s42, s20
	v_add_f64 v[195:196], v[195:196], v[199:200]
	v_add_f64 v[153:154], v[48:49], -v[127:128]
	v_add_f64 v[16:17], v[48:49], v[127:128]
	v_mul_f64 v[159:160], v[151:152], s[28:29]
	v_mul_f64 v[161:162], v[18:19], s[14:15]
	;; [unrolled: 1-line block ×4, first 2 shown]
	v_fma_f64 v[197:198], v[141:142], s[28:29], v[169:170]
	v_fma_f64 v[199:200], v[149:150], s[42:43], v[157:158]
	v_add_f64 v[201:202], v[10:11], v[215:216]
	v_fma_f64 v[165:166], v[118:119], s[14:15], -v[165:166]
	v_mul_f64 v[185:186], v[62:63], s[6:7]
	v_add_f64 v[0:1], v[0:1], v[24:25]
	v_add_f64 v[2:3], v[2:3], v[26:27]
	v_fma_f64 v[24:25], v[92:93], s[16:17], -v[40:41]
	v_fma_f64 v[26:27], v[62:63], s[16:17], -v[80:81]
	v_fma_f64 v[40:41], v[60:61], s[14:15], v[90:91]
	v_add_f64 v[135:136], v[135:136], v[173:174]
	v_add_f64 v[173:174], v[205:206], v[175:176]
	;; [unrolled: 1-line block ×7, first 2 shown]
	v_fma_f64 v[205:206], v[92:93], s[4:5], v[171:172]
	v_fma_f64 v[20:21], v[58:59], s[14:15], v[70:71]
	;; [unrolled: 1-line block ×4, first 2 shown]
	v_mul_f64 v[209:210], v[94:95], s[14:15]
	v_fma_f64 v[48:49], v[145:146], s[34:35], v[48:49]
	v_mul_f64 v[187:188], v[147:148], s[38:39]
	v_add_f64 v[197:198], v[197:198], v[201:202]
	v_mul_f64 v[201:202], v[143:144], s[20:21]
	v_mul_f64 v[143:144], v[143:144], s[28:29]
	v_add_f64 v[0:1], v[0:1], v[28:29]
	v_add_f64 v[2:3], v[2:3], v[30:31]
	v_fma_f64 v[28:29], v[60:61], s[4:5], -v[44:45]
	v_add_f64 v[12:13], v[24:25], v[12:13]
	v_fma_f64 v[24:25], v[131:132], s[34:35], v[46:47]
	v_fma_f64 v[30:31], v[64:65], s[14:15], -v[72:73]
	v_fma_f64 v[44:45], v[58:59], s[6:7], v[82:83]
	v_fma_f64 v[46:47], v[64:65], s[6:7], -v[84:85]
	v_add_f64 v[22:23], v[22:23], v[135:136]
	v_add_f64 v[26:27], v[26:27], v[173:174]
	;; [unrolled: 1-line block ×6, first 2 shown]
	v_fma_f64 v[177:178], v[60:61], s[6:7], v[50:51]
	v_add_f64 v[181:182], v[205:206], v[195:196]
	v_fma_f64 v[195:196], v[16:17], s[14:15], v[159:160]
	v_mul_f64 v[203:204], v[94:95], s[18:19]
	v_mul_f64 v[189:190], v[64:65], s[8:9]
	v_add_f64 v[193:194], v[207:208], v[197:198]
	v_fma_f64 v[179:180], v[131:132], s[26:27], v[185:186]
	v_mul_f64 v[66:67], v[151:152], s[30:31]
	v_add_f64 v[0:1], v[0:1], v[32:33]
	v_add_f64 v[2:3], v[2:3], v[34:35]
	v_fma_f64 v[32:33], v[58:59], s[18:19], -v[155:156]
	v_add_f64 v[12:13], v[28:29], v[12:13]
	v_fma_f64 v[28:29], v[149:150], s[20:21], v[157:158]
	v_add_f64 v[14:15], v[24:25], v[14:15]
	v_mul_f64 v[24:25], v[124:125], s[8:9]
	v_mul_f64 v[68:69], v[153:154], s[30:31]
	v_add_f64 v[20:21], v[20:21], v[22:23]
	v_add_f64 v[22:23], v[30:31], v[26:27]
	;; [unrolled: 1-line block ×6, first 2 shown]
	v_fma_f64 v[44:45], v[153:154], s[28:29], v[161:162]
	v_fma_f64 v[46:47], v[122:123], s[14:15], v[191:192]
	v_mul_f64 v[135:136], v[137:138], s[26:27]
	v_fma_f64 v[173:174], v[122:123], s[14:15], -v[191:192]
	v_mul_f64 v[137:138], v[137:138], s[34:35]
	v_mul_f64 v[191:192], v[120:121], s[4:5]
	;; [unrolled: 1-line block ×4, first 2 shown]
	v_add_f64 v[0:1], v[0:1], v[36:37]
	v_add_f64 v[2:3], v[2:3], v[38:39]
	v_fma_f64 v[36:37], v[153:154], s[40:41], v[161:162]
	v_add_f64 v[12:13], v[32:33], v[12:13]
	v_fma_f64 v[32:33], v[122:123], s[16:17], -v[163:164]
	v_add_f64 v[14:15], v[28:29], v[14:15]
	v_fma_f64 v[28:29], v[16:17], s[14:15], -v[159:160]
	v_fma_f64 v[38:39], v[139:140], s[22:23], v[167:168]
	v_fma_f64 v[159:160], v[139:140], s[40:41], v[127:128]
	v_mul_f64 v[161:162], v[120:121], s[6:7]
	v_add_f64 v[163:164], v[177:178], v[181:182]
	v_fma_f64 v[127:128], v[139:140], s[28:29], v[127:128]
	v_fma_f64 v[181:182], v[122:123], s[8:9], v[129:130]
	v_fma_f64 v[183:184], v[139:140], s[38:39], v[24:25]
	v_fma_f64 v[129:130], v[122:123], s[8:9], -v[129:130]
	v_fma_f64 v[24:25], v[139:140], s[30:31], v[24:25]
	v_fma_f64 v[139:140], v[141:142], s[40:41], v[169:170]
	v_add_f64 v[46:47], v[8:9], v[46:47]
	v_fma_f64 v[169:170], v[118:119], s[6:7], v[135:136]
	v_add_f64 v[173:174], v[8:9], v[173:174]
	v_fma_f64 v[135:136], v[118:119], s[6:7], -v[135:136]
	v_fma_f64 v[205:206], v[118:119], s[4:5], v[137:138]
	v_fma_f64 v[207:208], v[141:142], s[24:25], v[191:192]
	v_fma_f64 v[137:138], v[118:119], s[4:5], -v[137:138]
	v_add_f64 v[167:168], v[179:180], v[193:194]
	v_fma_f64 v[177:178], v[58:59], s[8:9], v[187:188]
	v_add_f64 v[32:33], v[8:9], v[32:33]
	v_fma_f64 v[179:180], v[149:150], s[30:31], v[189:190]
	v_mul_f64 v[193:194], v[151:152], s[42:43]
	v_add_f64 v[38:39], v[10:11], v[38:39]
	v_add_f64 v[159:160], v[10:11], v[159:160]
	v_fma_f64 v[199:200], v[141:142], s[0:1], v[161:162]
	v_fma_f64 v[161:162], v[141:142], s[26:27], v[161:162]
	v_add_f64 v[127:128], v[10:11], v[127:128]
	v_add_f64 v[181:182], v[8:9], v[181:182]
	;; [unrolled: 1-line block ×4, first 2 shown]
	v_fma_f64 v[141:142], v[141:142], s[34:35], v[191:192]
	v_add_f64 v[24:25], v[10:11], v[24:25]
	v_mul_f64 v[191:192], v[62:63], s[8:9]
	v_add_f64 v[46:47], v[169:170], v[46:47]
	v_fma_f64 v[169:170], v[145:146], s[42:43], v[203:204]
	v_add_f64 v[135:136], v[135:136], v[173:174]
	v_fma_f64 v[173:174], v[145:146], s[20:21], v[203:204]
	v_mul_f64 v[203:204], v[62:63], s[18:19]
	v_mul_f64 v[197:198], v[18:19], s[18:19]
	v_fma_f64 v[34:35], v[16:17], s[8:9], v[66:67]
	v_fma_f64 v[155:156], v[18:19], s[8:9], -v[68:69]
	v_add_f64 v[32:33], v[165:166], v[32:33]
	v_fma_f64 v[165:166], v[92:93], s[18:19], v[201:202]
	v_fma_f64 v[157:158], v[16:17], s[4:5], v[76:77]
	v_add_f64 v[38:39], v[139:140], v[38:39]
	v_fma_f64 v[139:140], v[92:93], s[4:5], -v[171:172]
	v_add_f64 v[159:160], v[199:200], v[159:160]
	v_mul_f64 v[171:172], v[133:134], s[38:39]
	v_add_f64 v[127:128], v[161:162], v[127:128]
	v_fma_f64 v[161:162], v[92:93], s[18:19], -v[201:202]
	v_add_f64 v[181:182], v[205:206], v[181:182]
	v_add_f64 v[183:184], v[207:208], v[183:184]
	v_fma_f64 v[199:200], v[92:93], s[14:15], v[143:144]
	v_fma_f64 v[201:202], v[145:146], s[40:41], v[209:210]
	v_mul_f64 v[133:134], v[133:134], s[42:43]
	v_add_f64 v[129:130], v[137:138], v[129:130]
	v_add_f64 v[24:25], v[141:142], v[24:25]
	v_fma_f64 v[137:138], v[92:93], s[14:15], -v[143:144]
	v_fma_f64 v[141:142], v[145:146], s[28:29], v[209:210]
	v_fma_f64 v[145:146], v[131:132], s[30:31], v[191:192]
	v_fma_f64 v[175:176], v[18:19], s[4:5], -v[78:79]
	v_add_f64 v[0:1], v[0:1], v[4:5]
	v_add_f64 v[2:3], v[2:3], v[6:7]
	;; [unrolled: 1-line block ×4, first 2 shown]
	v_mul_f64 v[165:166], v[64:65], s[4:5]
	v_add_f64 v[38:39], v[48:49], v[38:39]
	v_add_f64 v[32:33], v[139:140], v[32:33]
	v_fma_f64 v[48:49], v[60:61], s[6:7], -v[50:51]
	v_fma_f64 v[50:51], v[131:132], s[0:1], v[185:186]
	v_add_f64 v[139:140], v[169:170], v[159:160]
	v_fma_f64 v[143:144], v[60:61], s[8:9], v[171:172]
	v_mul_f64 v[159:160], v[147:148], s[34:35]
	v_add_f64 v[135:136], v[161:162], v[135:136]
	v_add_f64 v[127:128], v[173:174], v[127:128]
	v_fma_f64 v[161:162], v[60:61], s[8:9], -v[171:172]
	v_fma_f64 v[169:170], v[131:132], s[38:39], v[191:192]
	v_add_f64 v[171:172], v[199:200], v[181:182]
	v_add_f64 v[173:174], v[201:202], v[183:184]
	v_fma_f64 v[181:182], v[60:61], s[18:19], v[133:134]
	v_fma_f64 v[183:184], v[131:132], s[20:21], v[203:204]
	v_mul_f64 v[147:148], v[147:148], s[22:23]
	v_mul_f64 v[185:186], v[64:65], s[16:17]
	v_add_f64 v[129:130], v[137:138], v[129:130]
	v_add_f64 v[24:25], v[141:142], v[24:25]
	v_fma_f64 v[133:134], v[60:61], s[18:19], -v[133:134]
	v_fma_f64 v[131:132], v[131:132], s[42:43], v[203:204]
	v_fma_f64 v[141:142], v[149:150], s[24:25], v[165:166]
	v_add_f64 v[22:23], v[155:156], v[22:23]
	v_add_f64 v[4:5], v[157:158], v[26:27]
	;; [unrolled: 1-line block ×4, first 2 shown]
	v_fma_f64 v[48:49], v[58:59], s[8:9], -v[187:188]
	v_fma_f64 v[50:51], v[149:150], s[38:39], v[189:190]
	v_add_f64 v[46:47], v[143:144], v[46:47]
	v_add_f64 v[137:138], v[145:146], v[139:140]
	v_fma_f64 v[139:140], v[58:59], s[4:5], v[159:160]
	v_mul_f64 v[143:144], v[151:152], s[22:23]
	v_mul_f64 v[145:146], v[18:19], s[16:17]
	v_add_f64 v[135:136], v[161:162], v[135:136]
	v_add_f64 v[127:128], v[169:170], v[127:128]
	v_fma_f64 v[159:160], v[58:59], s[4:5], -v[159:160]
	v_fma_f64 v[161:162], v[149:150], s[34:35], v[165:166]
	v_add_f64 v[165:166], v[181:182], v[171:172]
	v_add_f64 v[169:170], v[183:184], v[173:174]
	v_fma_f64 v[171:172], v[58:59], s[16:17], v[147:148]
	v_fma_f64 v[173:174], v[149:150], s[36:37], v[185:186]
	v_mul_f64 v[151:152], v[151:152], s[26:27]
	v_mul_f64 v[181:182], v[18:19], s[6:7]
	v_add_f64 v[129:130], v[133:134], v[129:130]
	v_add_f64 v[24:25], v[131:132], v[24:25]
	v_fma_f64 v[131:132], v[58:59], s[16:17], -v[147:148]
	v_fma_f64 v[133:134], v[149:150], s[22:23], v[185:186]
	v_add_f64 v[147:148], v[177:178], v[163:164]
	v_add_f64 v[149:150], v[179:180], v[167:168]
	v_fma_f64 v[163:164], v[16:17], s[18:19], v[193:194]
	v_fma_f64 v[167:168], v[153:154], s[20:21], v[197:198]
	v_add_f64 v[32:33], v[48:49], v[32:33]
	v_add_f64 v[38:39], v[50:51], v[38:39]
	v_fma_f64 v[177:178], v[16:17], s[18:19], -v[193:194]
	v_fma_f64 v[179:180], v[153:154], s[42:43], v[197:198]
	v_add_f64 v[46:47], v[139:140], v[46:47]
	v_add_f64 v[137:138], v[141:142], v[137:138]
	v_fma_f64 v[139:140], v[16:17], s[16:17], v[143:144]
	v_fma_f64 v[141:142], v[153:154], s[36:37], v[145:146]
	;; [unrolled: 8-line block ×3, first 2 shown]
	v_add_f64 v[129:130], v[131:132], v[129:130]
	v_add_f64 v[131:132], v[133:134], v[24:25]
	v_fma_f64 v[133:134], v[16:17], s[6:7], -v[151:152]
	v_fma_f64 v[151:152], v[153:154], s[26:27], v[181:182]
	v_add_f64 v[6:7], v[175:176], v[30:31]
	v_add_f64 v[24:25], v[195:196], v[40:41]
	;; [unrolled: 1-line block ×11, first 2 shown]
	s_mov_b32 s1, exec_lo
	v_add_f64 v[40:41], v[143:144], v[135:136]
	v_add_f64 v[42:43], v[145:146], v[127:128]
	s_barrier
	v_add_f64 v[36:37], v[165:166], v[159:160]
	v_add_f64 v[38:39], v[169:170], v[161:162]
	buffer_gl0_inv
	v_add_f64 v[44:45], v[133:134], v[129:130]
	v_add_f64 v[46:47], v[151:152], v[131:132]
	v_cmpx_gt_u32_e32 0x6e, v54
	s_cbranch_execz .LBB0_15
; %bb.14:
	v_mul_f64 v[127:128], v[124:125], s[18:19]
	v_mul_f64 v[129:130], v[122:123], s[18:19]
	;; [unrolled: 1-line block ×8, first 2 shown]
	v_mad_u32_u24 v55, 0xc0, v54, v126
	v_add_f64 v[116:117], v[116:117], v[127:128]
	v_add_f64 v[114:115], v[129:130], -v[114:115]
	v_add_f64 v[112:113], v[112:113], v[124:125]
	v_add_f64 v[102:103], v[122:123], -v[102:103]
	v_mul_f64 v[122:123], v[92:93], s[6:7]
	v_mul_f64 v[124:125], v[94:95], s[6:7]
	v_mul_f64 v[92:93], v[92:93], s[8:9]
	v_mul_f64 v[94:95], v[94:95], s[8:9]
	v_add_f64 v[110:111], v[110:111], v[131:132]
	v_add_f64 v[108:109], v[133:134], -v[108:109]
	v_add_f64 v[100:101], v[100:101], v[120:121]
	v_add_f64 v[98:99], v[118:119], -v[98:99]
	v_add_f64 v[116:117], v[10:11], v[116:117]
	v_add_f64 v[114:115], v[8:9], v[114:115]
	v_add_f64 v[10:11], v[10:11], v[112:113]
	v_add_f64 v[8:9], v[8:9], v[102:103]
	v_mul_f64 v[102:103], v[60:61], s[16:17]
	v_mul_f64 v[112:113], v[62:63], s[16:17]
	v_mul_f64 v[60:61], v[60:61], s[14:15]
	v_mul_f64 v[62:63], v[62:63], s[14:15]
	v_add_f64 v[94:95], v[106:107], v[94:95]
	v_add_f64 v[92:93], v[92:93], -v[104:105]
	v_add_f64 v[88:89], v[88:89], v[124:125]
	v_add_f64 v[86:87], v[122:123], -v[86:87]
	v_add_f64 v[104:105], v[110:111], v[116:117]
	v_add_f64 v[106:107], v[108:109], v[114:115]
	v_add_f64 v[10:11], v[100:101], v[10:11]
	v_add_f64 v[8:9], v[98:99], v[8:9]
	;; [unrolled: 12-line block ×4, first 2 shown]
	v_add_f64 v[66:67], v[86:87], -v[66:67]
	v_add_f64 v[68:69], v[68:69], v[88:89]
	v_add_f64 v[16:17], v[16:17], -v[76:77]
	v_add_f64 v[18:19], v[78:79], v[18:19]
	v_add_f64 v[62:63], v[64:65], v[62:63]
	;; [unrolled: 1-line block ×9, first 2 shown]
	ds_write_b128 v55, v[0:3]
	ds_write_b128 v55, v[20:23] offset:16
	ds_write_b128 v55, v[4:7] offset:32
	;; [unrolled: 1-line block ×12, first 2 shown]
.LBB0_15:
	s_or_b32 exec_lo, exec_lo, s1
	v_cmp_gt_u32_e64 s0, 0x82, v54
	s_waitcnt lgkmcnt(0)
	s_barrier
	buffer_gl0_inv
	s_and_saveexec_b32 s1, s0
	s_cbranch_execz .LBB0_17
; %bb.16:
	ds_read_b128 v[0:3], v126
	ds_read_b128 v[20:23], v126 offset:2080
	ds_read_b128 v[4:7], v126 offset:4160
	;; [unrolled: 1-line block ×10, first 2 shown]
.LBB0_17:
	s_or_b32 exec_lo, exec_lo, s1
	s_waitcnt lgkmcnt(0)
	s_barrier
	buffer_gl0_inv
	s_and_saveexec_b32 s33, s0
	s_cbranch_execz .LBB0_19
; %bb.18:
	v_and_b32_e32 v8, 0xff, v54
	v_mov_b32_e32 v9, 10
	s_mov_b32 s18, 0xbb3a28a1
	s_mov_b32 s22, 0xf8bb580b
	;; [unrolled: 1-line block ×3, first 2 shown]
	v_mul_lo_u16 v8, 0x4f, v8
	s_mov_b32 s8, 0x43842ef
	s_mov_b32 s19, 0xbfe82f19
	;; [unrolled: 1-line block ×4, first 2 shown]
	v_lshrrev_b16 v55, 10, v8
	s_mov_b32 s29, 0xbfe14ced
	s_mov_b32 s28, s22
	;; [unrolled: 1-line block ×4, first 2 shown]
	v_mul_lo_u16 v8, v55, 13
	s_mov_b32 s16, 0x8eee2c13
	s_mov_b32 s6, 0x7f775887
	;; [unrolled: 1-line block ×4, first 2 shown]
	v_sub_nc_u16 v70, v54, v8
	s_mov_b32 s0, 0x640f44db
	s_mov_b32 s7, 0xbfe4f49e
	;; [unrolled: 1-line block ×4, first 2 shown]
	v_mul_u32_u24_sdwa v8, v70, v9 dst_sel:DWORD dst_unused:UNUSED_PAD src0_sel:BYTE_0 src1_sel:DWORD
	s_mov_b32 s27, 0x3fefac9e
	s_mov_b32 s31, 0x3fd207e7
	;; [unrolled: 1-line block ×4, first 2 shown]
	v_lshlrev_b32_e32 v16, 4, v8
	s_mov_b32 s1, 0xbfc2375f
	s_mov_b32 s4, 0xd9c712b6
	;; [unrolled: 1-line block ×3, first 2 shown]
	v_mov_b32_e32 v125, 0x8f0
	s_clause 0x9
	global_load_dwordx4 v[60:63], v16, s[12:13] offset:64
	global_load_dwordx4 v[71:74], v16, s[12:13] offset:80
	;; [unrolled: 1-line block ×6, first 2 shown]
	global_load_dwordx4 v[91:94], v16, s[12:13]
	global_load_dwordx4 v[95:98], v16, s[12:13] offset:144
	global_load_dwordx4 v[8:11], v16, s[12:13] offset:16
	;; [unrolled: 1-line block ×3, first 2 shown]
	v_mov_b32_e32 v245, 4
	s_waitcnt vmcnt(9)
	v_mul_f64 v[58:59], v[34:35], v[62:63]
	s_waitcnt vmcnt(8)
	v_mul_f64 v[99:100], v[38:39], v[73:74]
	v_mul_f64 v[101:102], v[32:33], v[62:63]
	;; [unrolled: 1-line block ×3, first 2 shown]
	s_waitcnt vmcnt(7)
	v_mul_f64 v[103:104], v[30:31], v[77:78]
	s_waitcnt vmcnt(6)
	v_mul_f64 v[105:106], v[46:47], v[81:82]
	v_mul_f64 v[77:78], v[28:29], v[77:78]
	s_waitcnt vmcnt(5)
	v_mul_f64 v[107:108], v[26:27], v[85:86]
	s_waitcnt vmcnt(4)
	;; [unrolled: 2-line block ×4, first 2 shown]
	v_mul_f64 v[113:114], v[50:51], v[97:98]
	v_mul_f64 v[81:82], v[44:45], v[81:82]
	;; [unrolled: 1-line block ×6, first 2 shown]
	s_waitcnt vmcnt(1)
	v_mul_f64 v[62:63], v[6:7], v[10:11]
	s_waitcnt vmcnt(0)
	v_mul_f64 v[64:65], v[14:15], v[18:19]
	v_mul_f64 v[66:67], v[4:5], v[10:11]
	;; [unrolled: 1-line block ×3, first 2 shown]
	v_fma_f64 v[58:59], v[32:33], v[60:61], v[58:59]
	v_fma_f64 v[32:33], v[36:37], v[71:72], v[99:100]
	v_fma_f64 v[36:37], v[34:35], v[60:61], -v[101:102]
	v_fma_f64 v[34:35], v[38:39], v[71:72], -v[73:74]
	v_fma_f64 v[38:39], v[28:29], v[75:76], v[103:104]
	v_fma_f64 v[28:29], v[44:45], v[79:80], v[105:106]
	v_fma_f64 v[44:45], v[30:31], v[75:76], -v[77:78]
	v_fma_f64 v[60:61], v[24:25], v[83:84], v[107:108]
	v_fma_f64 v[24:25], v[40:41], v[87:88], v[109:110]
	;; [unrolled: 1-line block ×4, first 2 shown]
	v_fma_f64 v[30:31], v[46:47], v[79:80], -v[81:82]
	v_fma_f64 v[46:47], v[22:23], v[91:92], -v[93:94]
	;; [unrolled: 1-line block ×5, first 2 shown]
	v_fma_f64 v[4:5], v[4:5], v[8:9], v[62:63]
	v_fma_f64 v[12:13], v[12:13], v[16:17], v[64:65]
	v_fma_f64 v[6:7], v[6:7], v[8:9], -v[66:67]
	v_fma_f64 v[8:9], v[14:15], v[16:17], -v[68:69]
	v_add_f64 v[14:15], v[58:59], -v[32:33]
	v_add_f64 v[73:74], v[58:59], v[32:33]
	v_add_f64 v[48:49], v[36:37], -v[34:35]
	v_add_f64 v[64:65], v[36:37], v[34:35]
	;; [unrolled: 2-line block ×5, first 2 shown]
	v_add_f64 v[40:41], v[0:1], v[40:41]
	v_add_f64 v[62:63], v[46:47], -v[18:19]
	v_add_f64 v[71:72], v[46:47], v[18:19]
	v_add_f64 v[46:47], v[2:3], v[46:47]
	v_add_f64 v[50:51], v[44:45], -v[30:31]
	v_add_f64 v[83:84], v[4:5], -v[12:13]
	v_add_f64 v[89:90], v[4:5], v[12:13]
	v_add_f64 v[85:86], v[6:7], v[8:9]
	v_add_f64 v[87:88], v[6:7], -v[8:9]
	v_add_f64 v[77:78], v[22:23], -v[20:21]
	v_add_f64 v[66:67], v[44:45], v[30:31]
	v_mul_f64 v[105:106], v[14:15], s[16:17]
	v_add_f64 v[68:69], v[22:23], v[20:21]
	v_mul_f64 v[113:114], v[48:49], s[16:17]
	v_mul_f64 v[91:92], v[14:15], s[8:9]
	;; [unrolled: 1-line block ×9, first 2 shown]
	v_add_f64 v[4:5], v[40:41], v[4:5]
	v_mul_f64 v[103:104], v[62:63], s[24:25]
	v_mul_f64 v[117:118], v[62:63], s[18:19]
	v_add_f64 v[6:7], v[46:47], v[6:7]
	v_mul_f64 v[145:146], v[42:43], s[28:29]
	v_mul_f64 v[147:148], v[62:63], s[28:29]
	;; [unrolled: 1-line block ×6, first 2 shown]
	s_mov_b32 s17, 0xbfed1bb4
	v_mul_f64 v[109:110], v[26:27], s[28:29]
	v_mul_f64 v[42:43], v[42:43], s[16:17]
	;; [unrolled: 1-line block ×11, first 2 shown]
	v_add_f64 v[4:5], v[4:5], v[60:61]
	v_mul_f64 v[143:144], v[48:49], s[22:23]
	v_mul_f64 v[14:15], v[14:15], s[24:25]
	v_add_f64 v[6:7], v[6:7], v[22:23]
	v_mul_f64 v[16:17], v[16:17], s[18:19]
	v_mul_f64 v[26:27], v[26:27], s[8:9]
	;; [unrolled: 1-line block ×18, first 2 shown]
	v_add_f64 v[4:5], v[4:5], v[38:39]
	v_mul_f64 v[87:88], v[87:88], s[16:17]
	v_fma_f64 v[175:176], v[71:72], s[20:21], v[97:98]
	v_add_f64 v[6:7], v[6:7], v[44:45]
	v_fma_f64 v[179:180], v[79:80], s[20:21], -v[103:104]
	v_fma_f64 v[97:98], v[71:72], s[20:21], -v[97:98]
	v_fma_f64 v[103:104], v[79:80], s[20:21], v[103:104]
	v_fma_f64 v[187:188], v[71:72], s[6:7], v[111:112]
	v_fma_f64 v[191:192], v[79:80], s[6:7], -v[117:118]
	v_fma_f64 v[111:112], v[71:72], s[6:7], -v[111:112]
	v_fma_f64 v[117:118], v[79:80], s[6:7], v[117:118]
	v_fma_f64 v[207:208], v[71:72], s[14:15], v[145:146]
	;; [unrolled: 4-line block ×4, first 2 shown]
	v_fma_f64 v[243:244], v[79:80], s[4:5], -v[62:63]
	v_fma_f64 v[42:43], v[71:72], s[4:5], -v[42:43]
	v_fma_f64 v[62:63], v[79:80], s[4:5], v[62:63]
	v_add_f64 v[4:5], v[4:5], v[58:59]
	v_fma_f64 v[169:170], v[64:65], s[0:1], v[91:92]
	v_add_f64 v[6:7], v[6:7], v[36:37]
	v_fma_f64 v[171:172], v[66:67], s[4:5], v[93:94]
	v_fma_f64 v[173:174], v[68:69], s[6:7], v[95:96]
	v_fma_f64 v[177:178], v[73:74], s[0:1], -v[99:100]
	v_fma_f64 v[91:92], v[64:65], s[0:1], -v[91:92]
	v_fma_f64 v[93:94], v[66:67], s[4:5], -v[93:94]
	v_fma_f64 v[95:96], v[68:69], s[6:7], -v[95:96]
	v_fma_f64 v[99:100], v[73:74], s[0:1], v[99:100]
	v_fma_f64 v[181:182], v[64:65], s[4:5], v[105:106]
	v_fma_f64 v[183:184], v[66:67], s[20:21], v[107:108]
	v_fma_f64 v[185:186], v[68:69], s[14:15], v[109:110]
	v_fma_f64 v[189:190], v[73:74], s[4:5], -v[113:114]
	v_fma_f64 v[105:106], v[64:65], s[4:5], -v[105:106]
	v_fma_f64 v[107:108], v[66:67], s[20:21], -v[107:108]
	v_fma_f64 v[109:110], v[68:69], s[14:15], -v[109:110]
	v_fma_f64 v[113:114], v[73:74], s[4:5], v[113:114]
	v_fma_f64 v[193:194], v[64:65], s[6:7], v[119:120]
	;; [unrolled: 8-line block ×4, first 2 shown]
	v_fma_f64 v[64:65], v[64:65], s[20:21], -v[14:15]
	v_fma_f64 v[14:15], v[66:67], s[6:7], v[16:17]
	v_fma_f64 v[16:17], v[66:67], s[6:7], -v[16:17]
	v_fma_f64 v[66:67], v[68:69], s[0:1], v[26:27]
	v_fma_f64 v[26:27], v[68:69], s[0:1], -v[26:27]
	v_fma_f64 v[68:69], v[73:74], s[20:21], -v[48:49]
	v_fma_f64 v[48:49], v[73:74], s[20:21], v[48:49]
	v_fma_f64 v[73:74], v[75:76], s[4:5], -v[101:102]
	v_fma_f64 v[101:102], v[75:76], s[4:5], v[101:102]
	v_fma_f64 v[219:220], v[75:76], s[20:21], -v[115:116]
	v_fma_f64 v[22:23], v[75:76], s[20:21], v[115:116]
	v_fma_f64 v[60:61], v[75:76], s[14:15], -v[131:132]
	v_fma_f64 v[115:116], v[75:76], s[14:15], v[131:132]
	v_fma_f64 v[131:132], v[75:76], s[0:1], -v[149:150]
	v_fma_f64 v[149:150], v[75:76], s[0:1], v[149:150]
	v_fma_f64 v[221:222], v[75:76], s[6:7], -v[50:51]
	v_fma_f64 v[50:51], v[75:76], s[6:7], v[50:51]
	v_fma_f64 v[75:76], v[81:82], s[6:7], -v[40:41]
	v_fma_f64 v[40:41], v[81:82], s[6:7], v[40:41]
	v_fma_f64 v[223:224], v[81:82], s[14:15], -v[46:47]
	v_fma_f64 v[46:47], v[81:82], s[14:15], v[46:47]
	v_fma_f64 v[225:226], v[81:82], s[4:5], -v[133:134]
	v_fma_f64 v[133:134], v[81:82], s[4:5], v[133:134]
	v_fma_f64 v[227:228], v[81:82], s[20:21], -v[151:152]
	v_fma_f64 v[151:152], v[81:82], s[20:21], v[151:152]
	v_fma_f64 v[229:230], v[81:82], s[0:1], -v[77:78]
	v_fma_f64 v[77:78], v[81:82], s[0:1], v[77:78]
	v_fma_f64 v[81:82], v[85:86], s[14:15], v[153:154]
	v_fma_f64 v[153:154], v[85:86], s[14:15], -v[153:154]
	v_fma_f64 v[231:232], v[85:86], s[0:1], v[155:156]
	v_fma_f64 v[38:39], v[85:86], s[0:1], -v[155:156]
	;; [unrolled: 2-line block ×4, first 2 shown]
	v_fma_f64 v[233:234], v[89:90], s[14:15], -v[161:162]
	v_fma_f64 v[161:162], v[89:90], s[14:15], v[161:162]
	v_fma_f64 v[235:236], v[89:90], s[0:1], -v[163:164]
	v_fma_f64 v[163:164], v[89:90], s[0:1], v[163:164]
	;; [unrolled: 2-line block ×4, first 2 shown]
	v_fma_f64 v[71:72], v[85:86], s[4:5], v[83:84]
	v_fma_f64 v[79:80], v[85:86], s[4:5], -v[83:84]
	v_fma_f64 v[83:84], v[89:90], s[4:5], v[87:88]
	v_fma_f64 v[36:37], v[89:90], s[4:5], -v[87:88]
	v_add_f64 v[58:59], v[2:3], v[175:176]
	v_add_f64 v[85:86], v[0:1], v[179:180]
	;; [unrolled: 1-line block ×110, first 2 shown]
	v_mul_u32_u24_sdwa v8, v55, v125 dst_sel:DWORD dst_unused:UNUSED_PAD src0_sel:WORD_0 src1_sel:DWORD
	v_lshlrev_b32_sdwa v9, v245, v70 dst_sel:DWORD dst_unused:UNUSED_PAD src0_sel:DWORD src1_sel:BYTE_0
	v_add3_u32 v8, 0, v8, v9
	ds_write_b128 v8, v[32:35] offset:208
	ds_write_b128 v8, v[28:31] offset:624
	;; [unrolled: 1-line block ×9, first 2 shown]
	ds_write_b128 v8, v[16:19]
	ds_write_b128 v8, v[36:39] offset:2080
.LBB0_19:
	s_or_b32 exec_lo, exec_lo, s33
	v_mul_u32_u24_e32 v0, 9, v54
	s_load_dwordx2 s[2:3], s[2:3], 0x0
	s_waitcnt lgkmcnt(0)
	s_barrier
	buffer_gl0_inv
	v_lshlrev_b32_e32 v0, 4, v0
	s_mov_b32 s6, 0x134454ff
	s_mov_b32 s7, 0xbfee6f0e
	;; [unrolled: 1-line block ×4, first 2 shown]
	v_add_co_u32 v0, s0, s12, v0
	v_add_co_ci_u32_e64 v1, null, s13, 0, s0
	s_mov_b32 s8, 0x4755a5e
	v_add_co_u32 v24, s0, 0x820, v0
	v_add_co_ci_u32_e64 v25, s0, 0, v1, s0
	v_add_co_u32 v16, s0, 0x800, v0
	v_add_co_ci_u32_e64 v17, s0, 0, v1, s0
	;; [unrolled: 2-line block ×3, first 2 shown]
	s_clause 0x8
	global_load_dwordx4 v[0:3], v[24:25], off offset:32
	global_load_dwordx4 v[4:7], v[16:17], off offset:96
	;; [unrolled: 1-line block ×9, first 2 shown]
	ds_read_b128 v[36:39], v126 offset:6864
	ds_read_b128 v[40:43], v126 offset:11440
	;; [unrolled: 1-line block ×9, first 2 shown]
	ds_read_b128 v[78:81], v126
	s_mov_b32 s9, 0xbfe2cf23
	s_mov_b32 s15, 0x3fe2cf23
	;; [unrolled: 1-line block ×11, first 2 shown]
	s_waitcnt vmcnt(0) lgkmcnt(0)
	s_barrier
	buffer_gl0_inv
	v_mov_b32_e32 v55, 0
	v_mul_f64 v[82:83], v[36:37], v[2:3]
	v_mul_f64 v[84:85], v[40:41], v[6:7]
	;; [unrolled: 1-line block ×18, first 2 shown]
	v_fma_f64 v[38:39], v[38:39], v[0:1], -v[82:83]
	v_fma_f64 v[42:43], v[42:43], v[4:5], -v[84:85]
	;; [unrolled: 1-line block ×4, first 2 shown]
	v_fma_f64 v[0:1], v[36:37], v[0:1], v[2:3]
	v_fma_f64 v[4:5], v[40:41], v[4:5], v[6:7]
	;; [unrolled: 1-line block ×4, first 2 shown]
	v_fma_f64 v[12:13], v[60:61], v[16:17], -v[90:91]
	v_fma_f64 v[62:63], v[62:63], v[20:21], v[92:93]
	v_fma_f64 v[20:21], v[64:65], v[20:21], -v[22:23]
	v_fma_f64 v[2:3], v[66:67], v[24:25], v[94:95]
	;; [unrolled: 2-line block ×3, first 2 shown]
	v_fma_f64 v[28:29], v[72:73], v[28:29], -v[30:31]
	v_fma_f64 v[26:27], v[76:77], v[32:33], -v[98:99]
	v_fma_f64 v[6:7], v[74:75], v[32:33], v[34:35]
	v_fma_f64 v[16:17], v[58:59], v[16:17], v[18:19]
	v_add_f64 v[90:91], v[38:39], -v[42:43]
	v_add_f64 v[14:15], v[42:43], v[46:47]
	v_add_f64 v[30:31], v[38:39], v[50:51]
	v_add_f64 v[88:89], v[38:39], -v[50:51]
	v_add_f64 v[92:93], v[50:51], -v[46:47]
	;; [unrolled: 1-line block ×3, first 2 shown]
	v_add_f64 v[48:49], v[4:5], v[8:9]
	v_add_f64 v[58:59], v[0:1], v[10:11]
	v_add_f64 v[60:61], v[0:1], -v[10:11]
	v_add_f64 v[64:65], v[4:5], -v[8:9]
	v_add_f64 v[18:19], v[78:79], v[62:63]
	v_add_f64 v[40:41], v[62:63], -v[2:3]
	v_add_f64 v[94:95], v[42:43], -v[38:39]
	v_add_f64 v[32:33], v[2:3], v[24:25]
	v_add_f64 v[74:75], v[22:23], v[28:29]
	;; [unrolled: 1-line block ×3, first 2 shown]
	v_add_f64 v[44:45], v[6:7], -v[24:25]
	v_add_f64 v[66:67], v[62:63], v[6:7]
	v_add_f64 v[96:97], v[46:47], -v[50:51]
	v_add_f64 v[72:73], v[80:81], v[20:21]
	v_add_f64 v[34:35], v[20:21], -v[26:27]
	v_add_f64 v[36:37], v[22:23], -v[28:29]
	v_add_f64 v[68:69], v[2:3], -v[62:63]
	v_fma_f64 v[14:15], v[14:15], -0.5, v[12:13]
	v_fma_f64 v[30:31], v[30:31], -0.5, v[12:13]
	v_add_f64 v[12:13], v[12:13], v[38:39]
	v_add_f64 v[70:71], v[24:25], -v[6:7]
	v_add_f64 v[62:63], v[62:63], -v[6:7]
	v_fma_f64 v[48:49], v[48:49], -0.5, v[16:17]
	v_fma_f64 v[58:59], v[58:59], -0.5, v[16:17]
	v_add_f64 v[16:17], v[16:17], v[0:1]
	v_add_f64 v[76:77], v[2:3], -v[24:25]
	v_add_f64 v[106:107], v[0:1], -v[4:5]
	;; [unrolled: 1-line block ×3, first 2 shown]
	v_add_f64 v[2:3], v[18:19], v[2:3]
	v_fma_f64 v[32:33], v[32:33], -0.5, v[78:79]
	v_add_f64 v[0:1], v[4:5], -v[0:1]
	v_add_f64 v[110:111], v[8:9], -v[10:11]
	v_add_f64 v[38:39], v[40:41], v[44:45]
	v_fma_f64 v[18:19], v[66:67], -0.5, v[78:79]
	v_fma_f64 v[40:41], v[74:75], -0.5, v[80:81]
	;; [unrolled: 1-line block ×3, first 2 shown]
	v_add_f64 v[66:67], v[90:91], v[92:93]
	v_add_f64 v[74:75], v[94:95], v[96:97]
	v_add_f64 v[82:83], v[20:21], -v[22:23]
	v_fma_f64 v[102:103], v[60:61], s[4:5], v[14:15]
	v_fma_f64 v[104:105], v[64:65], s[6:7], v[30:31]
	;; [unrolled: 1-line block ×4, first 2 shown]
	v_add_f64 v[20:21], v[22:23], -v[20:21]
	v_fma_f64 v[78:79], v[88:89], s[6:7], v[48:49]
	v_fma_f64 v[80:81], v[98:99], s[4:5], v[58:59]
	;; [unrolled: 1-line block ×4, first 2 shown]
	v_add_f64 v[22:23], v[72:73], v[22:23]
	v_add_f64 v[4:5], v[16:17], v[4:5]
	;; [unrolled: 1-line block ×3, first 2 shown]
	v_add_f64 v[84:85], v[26:27], -v[28:29]
	v_add_f64 v[16:17], v[106:107], v[108:109]
	v_fma_f64 v[42:43], v[34:35], s[6:7], v[32:33]
	v_fma_f64 v[32:33], v[34:35], s[4:5], v[32:33]
	v_add_f64 v[100:101], v[28:29], -v[26:27]
	v_add_f64 v[0:1], v[0:1], v[110:111]
	v_add_f64 v[2:3], v[2:3], v[24:25]
	v_fma_f64 v[86:87], v[64:65], s[14:15], v[102:103]
	v_fma_f64 v[90:91], v[60:61], s[14:15], v[104:105]
	v_fma_f64 v[30:31], v[60:61], s[8:9], v[30:31]
	v_fma_f64 v[14:15], v[64:65], s[8:9], v[14:15]
	v_add_f64 v[60:61], v[68:69], v[70:71]
	v_fma_f64 v[64:65], v[36:37], s[4:5], v[18:19]
	v_fma_f64 v[18:19], v[36:37], s[6:7], v[18:19]
	;; [unrolled: 1-line block ×10, first 2 shown]
	v_add_f64 v[22:23], v[22:23], v[28:29]
	v_add_f64 v[4:5], v[4:5], v[8:9]
	;; [unrolled: 1-line block ×3, first 2 shown]
	v_fma_f64 v[12:13], v[36:37], s[8:9], v[42:43]
	v_fma_f64 v[24:25], v[36:37], s[14:15], v[32:33]
	v_add_f64 v[20:21], v[20:21], v[100:101]
	v_add_f64 v[6:7], v[2:3], v[6:7]
	v_fma_f64 v[80:81], v[66:67], s[0:1], v[86:87]
	v_fma_f64 v[86:87], v[74:75], s[0:1], v[90:91]
	;; [unrolled: 1-line block ×4, first 2 shown]
	v_add_f64 v[66:67], v[82:83], v[84:85]
	v_fma_f64 v[28:29], v[34:35], s[8:9], v[64:65]
	v_fma_f64 v[18:19], v[34:35], s[14:15], v[18:19]
	;; [unrolled: 1-line block ×10, first 2 shown]
	v_add_f64 v[22:23], v[22:23], v[26:27]
	v_add_f64 v[4:5], v[4:5], v[10:11]
	;; [unrolled: 1-line block ×3, first 2 shown]
	v_fma_f64 v[26:27], v[38:39], s[0:1], v[12:13]
	v_fma_f64 v[38:39], v[38:39], s[0:1], v[24:25]
	v_mul_f64 v[46:47], v[80:81], s[8:9]
	v_mul_f64 v[64:65], v[80:81], s[16:17]
	;; [unrolled: 1-line block ×8, first 2 shown]
	v_fma_f64 v[28:29], v[60:61], s[0:1], v[28:29]
	v_fma_f64 v[50:51], v[60:61], s[0:1], v[18:19]
	v_fma_f64 v[60:61], v[66:67], s[0:1], v[32:33]
	v_fma_f64 v[66:67], v[66:67], s[0:1], v[34:35]
	v_fma_f64 v[34:35], v[20:21], s[0:1], v[36:37]
	v_fma_f64 v[40:41], v[20:21], s[0:1], v[40:41]
	v_add_f64 v[2:3], v[22:23], v[8:9]
	v_fma_f64 v[24:25], v[42:43], s[16:17], v[46:47]
	v_fma_f64 v[42:43], v[42:43], s[14:15], v[64:65]
	;; [unrolled: 1-line block ×8, first 2 shown]
	v_add_f64 v[0:1], v[6:7], v[4:5]
	v_add_f64 v[4:5], v[6:7], -v[4:5]
	v_add_f64 v[6:7], v[22:23], -v[8:9]
	s_add_u32 s1, s12, 0x5890
	s_addc_u32 s4, s13, 0
	s_mov_b32 s5, exec_lo
	v_add_f64 v[8:9], v[26:27], v[24:25]
	v_add_f64 v[10:11], v[60:61], v[42:43]
	;; [unrolled: 1-line block ×8, first 2 shown]
	v_add_f64 v[24:25], v[26:27], -v[24:25]
	v_add_f64 v[26:27], v[60:61], -v[42:43]
	;; [unrolled: 1-line block ×8, first 2 shown]
	ds_write_b128 v126, v[0:3]
	ds_write_b128 v126, v[4:7] offset:11440
	ds_write_b128 v126, v[8:11] offset:2288
	;; [unrolled: 1-line block ×9, first 2 shown]
	s_waitcnt lgkmcnt(0)
	s_barrier
	buffer_gl0_inv
	ds_read_b128 v[4:7], v126
	v_lshlrev_b32_e32 v0, 4, v54
                                        ; implicit-def: $vgpr8_vgpr9
                                        ; implicit-def: $vgpr10_vgpr11
	v_sub_nc_u32_e32 v12, 0, v0
                                        ; implicit-def: $vgpr0_vgpr1
	v_cmpx_ne_u32_e32 0, v54
	s_xor_b32 s5, exec_lo, s5
	s_cbranch_execz .LBB0_21
; %bb.20:
	v_lshlrev_b64 v[0:1], 4, v[54:55]
	v_add_co_u32 v0, s0, s1, v0
	v_add_co_ci_u32_e64 v1, s0, s4, v1, s0
	global_load_dwordx4 v[13:16], v[0:1], off
	ds_read_b128 v[0:3], v12 offset:22880
	s_waitcnt lgkmcnt(0)
	v_add_f64 v[8:9], v[4:5], -v[0:1]
	v_add_f64 v[10:11], v[6:7], v[2:3]
	v_add_f64 v[2:3], v[6:7], -v[2:3]
	v_add_f64 v[0:1], v[4:5], v[0:1]
	v_mul_f64 v[6:7], v[8:9], 0.5
	v_mul_f64 v[4:5], v[10:11], 0.5
	;; [unrolled: 1-line block ×3, first 2 shown]
	s_waitcnt vmcnt(0)
	v_mul_f64 v[8:9], v[6:7], v[15:16]
	v_fma_f64 v[10:11], v[4:5], v[15:16], v[2:3]
	v_fma_f64 v[2:3], v[4:5], v[15:16], -v[2:3]
	v_fma_f64 v[17:18], v[0:1], 0.5, v[8:9]
	v_fma_f64 v[0:1], v[0:1], 0.5, -v[8:9]
	v_fma_f64 v[10:11], -v[13:14], v[6:7], v[10:11]
	v_fma_f64 v[2:3], -v[13:14], v[6:7], v[2:3]
	v_fma_f64 v[8:9], v[4:5], v[13:14], v[17:18]
	v_fma_f64 v[0:1], -v[4:5], v[13:14], v[0:1]
                                        ; implicit-def: $vgpr4_vgpr5
.LBB0_21:
	s_andn2_saveexec_b32 s0, s5
	s_cbranch_execz .LBB0_23
; %bb.22:
	v_mov_b32_e32 v15, 0
	s_waitcnt lgkmcnt(0)
	v_add_f64 v[8:9], v[4:5], v[6:7]
	v_add_f64 v[0:1], v[4:5], -v[6:7]
	v_mov_b32_e32 v10, 0
	v_mov_b32_e32 v11, 0
	ds_read_b64 v[13:14], v15 offset:11448
	v_mov_b32_e32 v2, v10
	v_mov_b32_e32 v3, v11
	s_waitcnt lgkmcnt(0)
	v_xor_b32_e32 v14, 0x80000000, v14
	ds_write_b64 v15, v[13:14] offset:11448
.LBB0_23:
	s_or_b32 exec_lo, exec_lo, s0
	s_waitcnt lgkmcnt(0)
	v_add_nc_u32_e32 v4, 0x8f, v54
	v_mov_b32_e32 v5, 0
	ds_write2_b64 v126, v[8:9], v[10:11] offset1:1
	ds_write_b128 v12, v[0:3] offset:22880
	v_lshlrev_b64 v[6:7], 4, v[4:5]
	v_add_nc_u32_e32 v4, 0x11e, v54
	v_add_co_u32 v6, s0, s1, v6
	v_add_co_ci_u32_e64 v7, s0, s4, v7, s0
	global_load_dwordx4 v[13:16], v[6:7], off
	v_lshlrev_b64 v[6:7], 4, v[4:5]
	v_add_nc_u32_e32 v4, 0x1ad, v54
	v_lshlrev_b64 v[10:11], 4, v[4:5]
	v_add_co_u32 v6, s0, s1, v6
	v_add_co_ci_u32_e64 v7, s0, s4, v7, s0
	v_add_nc_u32_e32 v4, 0x23c, v54
	v_add_co_u32 v10, s0, s1, v10
	global_load_dwordx4 v[17:20], v[6:7], off
	ds_read_b128 v[0:3], v126 offset:2288
	ds_read_b128 v[6:9], v12 offset:20592
	v_add_co_ci_u32_e64 v11, s0, s4, v11, s0
	global_load_dwordx4 v[21:24], v[10:11], off
	s_waitcnt lgkmcnt(0)
	v_add_f64 v[10:11], v[0:1], -v[6:7]
	v_add_f64 v[25:26], v[2:3], v[8:9]
	v_add_f64 v[2:3], v[2:3], -v[8:9]
	v_add_f64 v[0:1], v[0:1], v[6:7]
	v_mul_f64 v[8:9], v[10:11], 0.5
	v_mul_f64 v[10:11], v[25:26], 0.5
	;; [unrolled: 1-line block ×3, first 2 shown]
	s_waitcnt vmcnt(2)
	v_mul_f64 v[6:7], v[8:9], v[15:16]
	v_fma_f64 v[25:26], v[10:11], v[15:16], v[2:3]
	v_fma_f64 v[2:3], v[10:11], v[15:16], -v[2:3]
	v_fma_f64 v[15:16], v[0:1], 0.5, v[6:7]
	v_fma_f64 v[0:1], v[0:1], 0.5, -v[6:7]
	v_fma_f64 v[6:7], -v[13:14], v[8:9], v[25:26]
	v_fma_f64 v[2:3], -v[13:14], v[8:9], v[2:3]
	v_fma_f64 v[8:9], v[10:11], v[13:14], v[15:16]
	v_fma_f64 v[0:1], -v[10:11], v[13:14], v[0:1]
	v_lshlrev_b64 v[10:11], 4, v[4:5]
	v_add_nc_u32_e32 v13, 0x800, v126
	v_add_nc_u32_e32 v4, 0x1000, v126
	ds_write2_b64 v13, v[8:9], v[6:7] offset0:30 offset1:31
	ds_write_b128 v12, v[0:3] offset:20592
	v_add_co_u32 v10, s0, s1, v10
	ds_read_b128 v[0:3], v126 offset:4576
	ds_read_b128 v[6:9], v12 offset:18304
	v_add_co_ci_u32_e64 v11, s0, s4, v11, s0
	global_load_dwordx4 v[13:16], v[10:11], off
	s_waitcnt lgkmcnt(0)
	v_add_f64 v[10:11], v[0:1], -v[6:7]
	v_add_f64 v[25:26], v[2:3], v[8:9]
	v_add_f64 v[2:3], v[2:3], -v[8:9]
	v_add_f64 v[0:1], v[0:1], v[6:7]
	v_mul_f64 v[8:9], v[10:11], 0.5
	v_mul_f64 v[10:11], v[25:26], 0.5
	;; [unrolled: 1-line block ×3, first 2 shown]
	s_waitcnt vmcnt(2)
	v_mul_f64 v[6:7], v[8:9], v[19:20]
	v_fma_f64 v[25:26], v[10:11], v[19:20], v[2:3]
	v_fma_f64 v[2:3], v[10:11], v[19:20], -v[2:3]
	v_fma_f64 v[19:20], v[0:1], 0.5, v[6:7]
	v_fma_f64 v[0:1], v[0:1], 0.5, -v[6:7]
	v_fma_f64 v[6:7], -v[17:18], v[8:9], v[25:26]
	v_fma_f64 v[2:3], -v[17:18], v[8:9], v[2:3]
	v_fma_f64 v[8:9], v[10:11], v[17:18], v[19:20]
	v_fma_f64 v[0:1], -v[10:11], v[17:18], v[0:1]
	ds_write2_b64 v4, v[8:9], v[6:7] offset0:60 offset1:61
	ds_write_b128 v12, v[0:3] offset:18304
	ds_read_b128 v[0:3], v126 offset:6864
	ds_read_b128 v[6:9], v12 offset:16016
	v_add_nc_u32_e32 v4, 0x1800, v126
	s_waitcnt lgkmcnt(0)
	v_add_f64 v[10:11], v[0:1], -v[6:7]
	v_add_f64 v[17:18], v[2:3], v[8:9]
	v_add_f64 v[2:3], v[2:3], -v[8:9]
	v_add_f64 v[0:1], v[0:1], v[6:7]
	v_mul_f64 v[8:9], v[10:11], 0.5
	v_mul_f64 v[10:11], v[17:18], 0.5
	;; [unrolled: 1-line block ×3, first 2 shown]
	s_waitcnt vmcnt(1)
	v_mul_f64 v[6:7], v[8:9], v[23:24]
	v_fma_f64 v[17:18], v[10:11], v[23:24], v[2:3]
	v_fma_f64 v[2:3], v[10:11], v[23:24], -v[2:3]
	v_fma_f64 v[19:20], v[0:1], 0.5, v[6:7]
	v_fma_f64 v[0:1], v[0:1], 0.5, -v[6:7]
	v_fma_f64 v[6:7], -v[21:22], v[8:9], v[17:18]
	v_fma_f64 v[2:3], -v[21:22], v[8:9], v[2:3]
	v_fma_f64 v[8:9], v[10:11], v[21:22], v[19:20]
	v_fma_f64 v[0:1], -v[10:11], v[21:22], v[0:1]
	ds_write2_b64 v4, v[8:9], v[6:7] offset0:90 offset1:91
	ds_write_b128 v12, v[0:3] offset:16016
	ds_read_b128 v[0:3], v126 offset:9152
	ds_read_b128 v[6:9], v12 offset:13728
	v_add_nc_u32_e32 v4, 0x2000, v126
	s_waitcnt lgkmcnt(0)
	v_add_f64 v[10:11], v[0:1], -v[6:7]
	v_add_f64 v[17:18], v[2:3], v[8:9]
	v_add_f64 v[2:3], v[2:3], -v[8:9]
	v_add_f64 v[0:1], v[0:1], v[6:7]
	v_mul_f64 v[8:9], v[10:11], 0.5
	v_mul_f64 v[10:11], v[17:18], 0.5
	;; [unrolled: 1-line block ×3, first 2 shown]
	s_waitcnt vmcnt(0)
	v_mul_f64 v[6:7], v[8:9], v[15:16]
	v_fma_f64 v[17:18], v[10:11], v[15:16], v[2:3]
	v_fma_f64 v[2:3], v[10:11], v[15:16], -v[2:3]
	v_fma_f64 v[15:16], v[0:1], 0.5, v[6:7]
	v_fma_f64 v[0:1], v[0:1], 0.5, -v[6:7]
	v_fma_f64 v[6:7], -v[13:14], v[8:9], v[17:18]
	v_fma_f64 v[2:3], -v[13:14], v[8:9], v[2:3]
	v_fma_f64 v[8:9], v[10:11], v[13:14], v[15:16]
	v_fma_f64 v[0:1], -v[10:11], v[13:14], v[0:1]
	ds_write2_b64 v4, v[8:9], v[6:7] offset0:120 offset1:121
	ds_write_b128 v12, v[0:3] offset:13728
	s_waitcnt lgkmcnt(0)
	s_barrier
	buffer_gl0_inv
	s_and_saveexec_b32 s0, vcc_lo
	s_cbranch_execz .LBB0_26
; %bb.24:
	v_mul_lo_u32 v2, s3, v56
	v_mul_lo_u32 v3, s2, v57
	v_mad_u64_u32 v[0:1], null, s2, v56, 0
	v_lshl_add_u32 v28, v54, 4, 0
	v_mov_b32_e32 v55, v5
	ds_read_b128 v[6:9], v28
	ds_read_b128 v[10:13], v28 offset:2288
	v_add3_u32 v1, v1, v3, v2
	v_lshlrev_b64 v[2:3], 4, v[52:53]
	v_add_nc_u32_e32 v4, 0x8f, v54
	v_lshlrev_b64 v[14:15], 4, v[54:55]
	v_lshlrev_b64 v[0:1], 4, v[0:1]
	;; [unrolled: 1-line block ×3, first 2 shown]
	v_add_nc_u32_e32 v4, 0x11e, v54
	v_add_co_u32 v0, vcc_lo, s10, v0
	v_add_co_ci_u32_e32 v1, vcc_lo, s11, v1, vcc_lo
	v_add_co_u32 v0, vcc_lo, v0, v2
	v_add_co_ci_u32_e32 v1, vcc_lo, v1, v3, vcc_lo
	;; [unrolled: 2-line block ×4, first 2 shown]
	v_lshlrev_b64 v[16:17], 4, v[4:5]
	v_add_nc_u32_e32 v4, 0x1ad, v54
	s_waitcnt lgkmcnt(1)
	global_store_dwordx4 v[2:3], v[6:9], off
	s_waitcnt lgkmcnt(0)
	global_store_dwordx4 v[14:15], v[10:13], off
	ds_read_b128 v[6:9], v28 offset:4576
	ds_read_b128 v[10:13], v28 offset:6864
	v_lshlrev_b64 v[2:3], 4, v[4:5]
	v_add_nc_u32_e32 v4, 0x23c, v54
	v_add_co_u32 v22, vcc_lo, v0, v16
	v_add_co_ci_u32_e32 v23, vcc_lo, v1, v17, vcc_lo
	ds_read_b128 v[14:17], v28 offset:9152
	ds_read_b128 v[18:21], v28 offset:11440
	v_lshlrev_b64 v[24:25], 4, v[4:5]
	v_add_nc_u32_e32 v4, 0x2cb, v54
	v_add_co_u32 v2, vcc_lo, v0, v2
	v_add_co_ci_u32_e32 v3, vcc_lo, v1, v3, vcc_lo
	v_lshlrev_b64 v[26:27], 4, v[4:5]
	v_add_nc_u32_e32 v4, 0x35a, v54
	v_add_co_u32 v24, vcc_lo, v0, v24
	s_waitcnt lgkmcnt(3)
	global_store_dwordx4 v[22:23], v[6:9], off
	v_add_co_ci_u32_e32 v25, vcc_lo, v1, v25, vcc_lo
	v_lshlrev_b64 v[6:7], 4, v[4:5]
	v_add_nc_u32_e32 v4, 0x3e9, v54
	v_add_co_u32 v26, vcc_lo, v0, v26
	v_add_co_ci_u32_e32 v27, vcc_lo, v1, v27, vcc_lo
	v_lshlrev_b64 v[22:23], 4, v[4:5]
	v_add_nc_u32_e32 v4, 0x478, v54
	s_waitcnt lgkmcnt(2)
	global_store_dwordx4 v[2:3], v[10:13], off
	s_waitcnt lgkmcnt(1)
	global_store_dwordx4 v[24:25], v[14:17], off
	;; [unrolled: 2-line block ×3, first 2 shown]
	v_add_co_u32 v2, vcc_lo, v0, v6
	v_add_co_ci_u32_e32 v3, vcc_lo, v1, v7, vcc_lo
	ds_read_b128 v[6:9], v28 offset:13728
	ds_read_b128 v[10:13], v28 offset:16016
	;; [unrolled: 1-line block ×4, first 2 shown]
	v_lshlrev_b64 v[24:25], 4, v[4:5]
	v_add_nc_u32_e32 v4, 0x507, v54
	v_add_co_u32 v22, vcc_lo, v0, v22
	v_add_co_ci_u32_e32 v23, vcc_lo, v1, v23, vcc_lo
	v_lshlrev_b64 v[4:5], 4, v[4:5]
	v_add_co_u32 v24, vcc_lo, v0, v24
	v_add_co_ci_u32_e32 v25, vcc_lo, v1, v25, vcc_lo
	v_add_co_u32 v4, vcc_lo, v0, v4
	v_add_co_ci_u32_e32 v5, vcc_lo, v1, v5, vcc_lo
	v_cmp_eq_u32_e32 vcc_lo, 0x8e, v54
	s_waitcnt lgkmcnt(3)
	global_store_dwordx4 v[2:3], v[6:9], off
	s_waitcnt lgkmcnt(2)
	global_store_dwordx4 v[22:23], v[10:13], off
	;; [unrolled: 2-line block ×4, first 2 shown]
	s_and_b32 exec_lo, exec_lo, vcc_lo
	s_cbranch_execz .LBB0_26
; %bb.25:
	v_mov_b32_e32 v2, 0
	v_add_co_u32 v0, vcc_lo, 0x5800, v0
	v_add_co_ci_u32_e32 v1, vcc_lo, 0, v1, vcc_lo
	ds_read_b128 v[2:5], v2 offset:22880
	s_waitcnt lgkmcnt(0)
	global_store_dwordx4 v[0:1], v[2:5], off offset:352
.LBB0_26:
	s_endpgm
	.section	.rodata,"a",@progbits
	.p2align	6, 0x0
	.amdhsa_kernel fft_rtc_back_len1430_factors_13_11_10_wgs_143_tpt_143_dp_op_CI_CI_unitstride_sbrr_R2C_dirReg
		.amdhsa_group_segment_fixed_size 0
		.amdhsa_private_segment_fixed_size 0
		.amdhsa_kernarg_size 104
		.amdhsa_user_sgpr_count 6
		.amdhsa_user_sgpr_private_segment_buffer 1
		.amdhsa_user_sgpr_dispatch_ptr 0
		.amdhsa_user_sgpr_queue_ptr 0
		.amdhsa_user_sgpr_kernarg_segment_ptr 1
		.amdhsa_user_sgpr_dispatch_id 0
		.amdhsa_user_sgpr_flat_scratch_init 0
		.amdhsa_user_sgpr_private_segment_size 0
		.amdhsa_wavefront_size32 1
		.amdhsa_uses_dynamic_stack 0
		.amdhsa_system_sgpr_private_segment_wavefront_offset 0
		.amdhsa_system_sgpr_workgroup_id_x 1
		.amdhsa_system_sgpr_workgroup_id_y 0
		.amdhsa_system_sgpr_workgroup_id_z 0
		.amdhsa_system_sgpr_workgroup_info 0
		.amdhsa_system_vgpr_workitem_id 0
		.amdhsa_next_free_vgpr 246
		.amdhsa_next_free_sgpr 44
		.amdhsa_reserve_vcc 1
		.amdhsa_reserve_flat_scratch 0
		.amdhsa_float_round_mode_32 0
		.amdhsa_float_round_mode_16_64 0
		.amdhsa_float_denorm_mode_32 3
		.amdhsa_float_denorm_mode_16_64 3
		.amdhsa_dx10_clamp 1
		.amdhsa_ieee_mode 1
		.amdhsa_fp16_overflow 0
		.amdhsa_workgroup_processor_mode 1
		.amdhsa_memory_ordered 1
		.amdhsa_forward_progress 0
		.amdhsa_shared_vgpr_count 0
		.amdhsa_exception_fp_ieee_invalid_op 0
		.amdhsa_exception_fp_denorm_src 0
		.amdhsa_exception_fp_ieee_div_zero 0
		.amdhsa_exception_fp_ieee_overflow 0
		.amdhsa_exception_fp_ieee_underflow 0
		.amdhsa_exception_fp_ieee_inexact 0
		.amdhsa_exception_int_div_zero 0
	.end_amdhsa_kernel
	.text
.Lfunc_end0:
	.size	fft_rtc_back_len1430_factors_13_11_10_wgs_143_tpt_143_dp_op_CI_CI_unitstride_sbrr_R2C_dirReg, .Lfunc_end0-fft_rtc_back_len1430_factors_13_11_10_wgs_143_tpt_143_dp_op_CI_CI_unitstride_sbrr_R2C_dirReg
                                        ; -- End function
	.section	.AMDGPU.csdata,"",@progbits
; Kernel info:
; codeLenInByte = 12832
; NumSgprs: 46
; NumVgprs: 246
; ScratchSize: 0
; MemoryBound: 0
; FloatMode: 240
; IeeeMode: 1
; LDSByteSize: 0 bytes/workgroup (compile time only)
; SGPRBlocks: 5
; VGPRBlocks: 30
; NumSGPRsForWavesPerEU: 46
; NumVGPRsForWavesPerEU: 246
; Occupancy: 4
; WaveLimiterHint : 1
; COMPUTE_PGM_RSRC2:SCRATCH_EN: 0
; COMPUTE_PGM_RSRC2:USER_SGPR: 6
; COMPUTE_PGM_RSRC2:TRAP_HANDLER: 0
; COMPUTE_PGM_RSRC2:TGID_X_EN: 1
; COMPUTE_PGM_RSRC2:TGID_Y_EN: 0
; COMPUTE_PGM_RSRC2:TGID_Z_EN: 0
; COMPUTE_PGM_RSRC2:TIDIG_COMP_CNT: 0
	.text
	.p2alignl 6, 3214868480
	.fill 48, 4, 3214868480
	.type	__hip_cuid_58229e316d7724a2,@object ; @__hip_cuid_58229e316d7724a2
	.section	.bss,"aw",@nobits
	.globl	__hip_cuid_58229e316d7724a2
__hip_cuid_58229e316d7724a2:
	.byte	0                               ; 0x0
	.size	__hip_cuid_58229e316d7724a2, 1

	.ident	"AMD clang version 19.0.0git (https://github.com/RadeonOpenCompute/llvm-project roc-6.4.0 25133 c7fe45cf4b819c5991fe208aaa96edf142730f1d)"
	.section	".note.GNU-stack","",@progbits
	.addrsig
	.addrsig_sym __hip_cuid_58229e316d7724a2
	.amdgpu_metadata
---
amdhsa.kernels:
  - .args:
      - .actual_access:  read_only
        .address_space:  global
        .offset:         0
        .size:           8
        .value_kind:     global_buffer
      - .offset:         8
        .size:           8
        .value_kind:     by_value
      - .actual_access:  read_only
        .address_space:  global
        .offset:         16
        .size:           8
        .value_kind:     global_buffer
      - .actual_access:  read_only
        .address_space:  global
        .offset:         24
        .size:           8
        .value_kind:     global_buffer
      - .actual_access:  read_only
        .address_space:  global
        .offset:         32
        .size:           8
        .value_kind:     global_buffer
      - .offset:         40
        .size:           8
        .value_kind:     by_value
      - .actual_access:  read_only
        .address_space:  global
        .offset:         48
        .size:           8
        .value_kind:     global_buffer
      - .actual_access:  read_only
        .address_space:  global
        .offset:         56
        .size:           8
        .value_kind:     global_buffer
      - .offset:         64
        .size:           4
        .value_kind:     by_value
      - .actual_access:  read_only
        .address_space:  global
        .offset:         72
        .size:           8
        .value_kind:     global_buffer
      - .actual_access:  read_only
        .address_space:  global
        .offset:         80
        .size:           8
        .value_kind:     global_buffer
      - .actual_access:  read_only
        .address_space:  global
        .offset:         88
        .size:           8
        .value_kind:     global_buffer
      - .actual_access:  write_only
        .address_space:  global
        .offset:         96
        .size:           8
        .value_kind:     global_buffer
    .group_segment_fixed_size: 0
    .kernarg_segment_align: 8
    .kernarg_segment_size: 104
    .language:       OpenCL C
    .language_version:
      - 2
      - 0
    .max_flat_workgroup_size: 143
    .name:           fft_rtc_back_len1430_factors_13_11_10_wgs_143_tpt_143_dp_op_CI_CI_unitstride_sbrr_R2C_dirReg
    .private_segment_fixed_size: 0
    .sgpr_count:     46
    .sgpr_spill_count: 0
    .symbol:         fft_rtc_back_len1430_factors_13_11_10_wgs_143_tpt_143_dp_op_CI_CI_unitstride_sbrr_R2C_dirReg.kd
    .uniform_work_group_size: 1
    .uses_dynamic_stack: false
    .vgpr_count:     246
    .vgpr_spill_count: 0
    .wavefront_size: 32
    .workgroup_processor_mode: 1
amdhsa.target:   amdgcn-amd-amdhsa--gfx1030
amdhsa.version:
  - 1
  - 2
...

	.end_amdgpu_metadata
